;; amdgpu-corpus repo=zjin-lcf/HeCBench kind=compiled arch=gfx1250 opt=O3
	.amdgcn_target "amdgcn-amd-amdhsa--gfx1250"
	.amdhsa_code_object_version 6
	.text
	.protected	_Z8findminsiPKiS0_PVh   ; -- Begin function _Z8findminsiPKiS0_PVh
	.globl	_Z8findminsiPKiS0_PVh
	.p2align	8
	.type	_Z8findminsiPKiS0_PVh,@function
_Z8findminsiPKiS0_PVh:                  ; @_Z8findminsiPKiS0_PVh
; %bb.0:
	s_load_b32 s2, s[0:1], 0x0
	s_bfe_u32 s3, ttmp6, 0x4000c
	s_and_b32 s4, ttmp6, 15
	s_add_co_i32 s3, s3, 1
	s_getreg_b32 s5, hwreg(HW_REG_IB_STS2, 6, 4)
	s_mul_i32 s3, ttmp9, s3
	s_delay_alu instid0(SALU_CYCLE_1)
	s_add_co_i32 s4, s4, s3
	s_cmp_eq_u32 s5, 0
	s_cselect_b32 s3, ttmp9, s4
	s_mov_b32 s4, exec_lo
	v_lshl_add_u32 v10, s3, 8, v0
	s_mov_b32 s3, 0
	s_wait_kmcnt 0x0
	s_delay_alu instid0(VALU_DEP_1)
	v_cmpx_gt_i32_e64 s2, v10
	s_cbranch_execz .LBB0_20
; %bb.1:
	s_clause 0x1
	s_load_b96 s[8:10], s[0:1], 0x18
	s_load_b128 s[4:7], s[0:1], 0x8
	v_dual_mov_b32 v11, 0 :: v_dual_mov_b32 v12, 0xfe
	v_dual_mov_b32 v13, 0 :: v_dual_mov_b32 v0, v10
	s_wait_kmcnt 0x0
	s_lshl_b32 s1, s10, 8
	s_mov_b32 s10, 0
.LBB0_2:                                ; =>This Loop Header: Depth=1
                                        ;     Child Loop BB0_6 Depth 2
                                        ;     Child Loop BB0_12 Depth 2
	flat_load_u8 v6, v0, s[8:9] scope:SCOPE_SYS
	s_wait_loadcnt 0x0
	s_mov_b32 s11, exec_lo
	s_wait_dscnt 0x0
	v_dual_ashrrev_i32 v1, 31, v0 :: v_dual_bitop2_b32 v2, 1, v6 bitop3:0x40
	s_wait_xcnt 0x0
	s_delay_alu instid0(VALU_DEP_1)
	v_cmpx_eq_u32_e32 1, v2
	s_cbranch_execz .LBB0_18
; %bb.3:                                ;   in Loop: Header=BB0_2 Depth=1
	s_delay_alu instid0(VALU_DEP_2)
	v_lshl_add_u64 v[2:3], v[0:1], 2, s[4:5]
	s_mov_b32 s0, -1
	s_mov_b32 s12, exec_lo
	global_load_b64 v[2:3], v[2:3], off
	s_wait_loadcnt 0x0
	v_cmpx_lt_i32_e64 v2, v3
	s_cbranch_execz .LBB0_15
; %bb.4:                                ;   in Loop: Header=BB0_2 Depth=1
	v_dual_mov_b32 v4, v2 :: v_dual_ashrrev_i32 v5, 31, v2
	v_and_b32_e32 v14, 0xff, v6
	v_mov_b32_e32 v15, v2
	s_mov_b32 s14, 0
                                        ; implicit-def: $sgpr13
	s_delay_alu instid0(VALU_DEP_3) | instskip(NEXT) | instid1(VALU_DEP_1)
	v_lshl_add_u64 v[4:5], v[4:5], 2, s[6:7]
	v_mov_b64_e32 v[6:7], v[4:5]
	s_branch .LBB0_6
.LBB0_5:                                ;   in Loop: Header=BB0_6 Depth=2
	s_or_b32 exec_lo, exec_lo, s17
	s_xor_b32 s15, s16, -1
	s_and_b32 s0, exec_lo, s0
	s_delay_alu instid0(SALU_CYCLE_1) | instskip(SKIP_2) | instid1(SALU_CYCLE_1)
	s_or_b32 s14, s0, s14
	s_and_not1_b32 s0, s13, exec_lo
	s_and_b32 s13, s15, exec_lo
	s_or_b32 s13, s0, s13
	s_and_not1_b32 exec_lo, exec_lo, s14
	s_cbranch_execz .LBB0_10
.LBB0_6:                                ;   Parent Loop BB0_2 Depth=1
                                        ; =>  This Inner Loop Header: Depth=2
	global_load_b32 v8, v[6:7], off
	s_mov_b32 s16, exec_lo
	s_wait_loadcnt 0x0
	flat_load_u8 v9, v8, s[8:9] scope:SCOPE_SYS
	s_wait_loadcnt_dscnt 0x0
	v_cmp_gt_u16_e64 s15, v14, v9
	v_cmpx_le_u16_e64 v14, v9
	s_cbranch_execz .LBB0_8
; %bb.7:                                ;   in Loop: Header=BB0_6 Depth=2
	v_ashrrev_i32_e32 v9, 31, v8
	v_cmp_gt_i32_e64 s0, v0, v8
	s_and_not1_b32 s15, s15, exec_lo
	v_add_nc_u64_e32 v[16:17], s[8:9], v[8:9]
	flat_load_u8 v9, v[16:17] scope:SCOPE_SYS
	s_wait_loadcnt_dscnt 0x0
	v_cmp_eq_u16_e32 vcc_lo, v14, v9
	s_and_b32 s0, s0, vcc_lo
	s_delay_alu instid0(SALU_CYCLE_1) | instskip(NEXT) | instid1(SALU_CYCLE_1)
	s_and_b32 s0, s0, exec_lo
	s_or_b32 s15, s15, s0
.LBB0_8:                                ;   in Loop: Header=BB0_6 Depth=2
	s_or_b32 exec_lo, exec_lo, s16
	s_mov_b32 s0, -1
	s_mov_b32 s16, -1
	s_and_saveexec_b32 s17, s15
	s_cbranch_execz .LBB0_5
; %bb.9:                                ;   in Loop: Header=BB0_6 Depth=2
	v_add_nc_u32_e32 v15, 1, v15
	v_add_nc_u64_e32 v[6:7], 4, v[6:7]
	s_xor_b32 s16, exec_lo, -1
	s_delay_alu instid0(VALU_DEP_2)
	v_cmp_ge_i32_e32 vcc_lo, v15, v3
	s_or_not1_b32 s0, vcc_lo, exec_lo
	s_branch .LBB0_5
.LBB0_10:                               ;   in Loop: Header=BB0_2 Depth=1
	s_or_b32 exec_lo, exec_lo, s14
	s_mov_b32 s14, 0
	s_and_saveexec_b32 s0, s13
	s_delay_alu instid0(SALU_CYCLE_1)
	s_xor_b32 s0, exec_lo, s0
	s_cbranch_execz .LBB0_14
; %bb.11:                               ;   in Loop: Header=BB0_2 Depth=1
	s_mov_b32 s13, 0
.LBB0_12:                               ;   Parent Loop BB0_2 Depth=1
                                        ; =>  This Inner Loop Header: Depth=2
	global_load_b32 v6, v[4:5], off
	v_add_nc_u32_e32 v2, 1, v2
	s_wait_xcnt 0x0
	v_add_nc_u64_e32 v[4:5], 4, v[4:5]
	s_delay_alu instid0(VALU_DEP_2)
	v_cmp_ge_i32_e32 vcc_lo, v2, v3
	s_or_b32 s13, vcc_lo, s13
	s_wait_loadcnt 0x0
	flat_store_b8 v6, v11, s[8:9] scope:SCOPE_SYS
	s_wait_storecnt 0x0
	s_wait_xcnt 0x0
	s_and_not1_b32 exec_lo, exec_lo, s13
	s_cbranch_execnz .LBB0_12
; %bb.13:                               ;   in Loop: Header=BB0_2 Depth=1
	s_or_b32 exec_lo, exec_lo, s13
	s_delay_alu instid0(SALU_CYCLE_1)
	s_mov_b32 s14, exec_lo
.LBB0_14:                               ;   in Loop: Header=BB0_2 Depth=1
	s_or_b32 exec_lo, exec_lo, s0
	s_delay_alu instid0(SALU_CYCLE_1)
	s_or_not1_b32 s0, s14, exec_lo
.LBB0_15:                               ;   in Loop: Header=BB0_2 Depth=1
	s_or_b32 exec_lo, exec_lo, s12
	v_mov_b32_e32 v2, 1
	s_and_saveexec_b32 s12, s0
	s_cbranch_execz .LBB0_17
; %bb.16:                               ;   in Loop: Header=BB0_2 Depth=1
	v_add_nc_u64_e32 v[4:5], s[8:9], v[0:1]
	v_mov_b32_e32 v2, v13
	flat_store_b8 v[4:5], v12 scope:SCOPE_SYS
	s_wait_storecnt 0x0
.LBB0_17:                               ;   in Loop: Header=BB0_2 Depth=1
	s_wait_xcnt 0x0
	s_or_b32 exec_lo, exec_lo, s12
	v_mov_b32_e32 v13, v2
.LBB0_18:                               ;   in Loop: Header=BB0_2 Depth=1
	s_or_b32 exec_lo, exec_lo, s11
	v_add_nc_u32_e32 v0, s1, v0
	s_delay_alu instid0(VALU_DEP_1) | instskip(SKIP_1) | instid1(SALU_CYCLE_1)
	v_cmp_le_i32_e32 vcc_lo, s2, v0
	s_or_b32 s10, vcc_lo, s10
	s_and_not1_b32 exec_lo, exec_lo, s10
	s_cbranch_execnz .LBB0_2
; %bb.19:                               ;   in Loop: Header=BB0_2 Depth=1
	s_or_b32 exec_lo, exec_lo, s10
	v_cmp_eq_u32_e32 vcc_lo, 0, v13
	v_dual_mov_b32 v13, 0 :: v_dual_mov_b32 v0, v10
	s_mov_b32 s10, 0
	s_or_b32 s3, vcc_lo, s3
	s_delay_alu instid0(SALU_CYCLE_1)
	s_and_not1_b32 exec_lo, exec_lo, s3
	s_cbranch_execnz .LBB0_2
.LBB0_20:
	s_endpgm
	.section	.rodata,"a",@progbits
	.p2align	6, 0x0
	.amdhsa_kernel _Z8findminsiPKiS0_PVh
		.amdhsa_group_segment_fixed_size 0
		.amdhsa_private_segment_fixed_size 0
		.amdhsa_kernarg_size 288
		.amdhsa_user_sgpr_count 2
		.amdhsa_user_sgpr_dispatch_ptr 0
		.amdhsa_user_sgpr_queue_ptr 0
		.amdhsa_user_sgpr_kernarg_segment_ptr 1
		.amdhsa_user_sgpr_dispatch_id 0
		.amdhsa_user_sgpr_kernarg_preload_length 0
		.amdhsa_user_sgpr_kernarg_preload_offset 0
		.amdhsa_user_sgpr_private_segment_size 0
		.amdhsa_wavefront_size32 1
		.amdhsa_uses_dynamic_stack 0
		.amdhsa_enable_private_segment 0
		.amdhsa_system_sgpr_workgroup_id_x 1
		.amdhsa_system_sgpr_workgroup_id_y 0
		.amdhsa_system_sgpr_workgroup_id_z 0
		.amdhsa_system_sgpr_workgroup_info 0
		.amdhsa_system_vgpr_workitem_id 0
		.amdhsa_next_free_vgpr 18
		.amdhsa_next_free_sgpr 18
		.amdhsa_named_barrier_count 0
		.amdhsa_reserve_vcc 1
		.amdhsa_float_round_mode_32 0
		.amdhsa_float_round_mode_16_64 0
		.amdhsa_float_denorm_mode_32 3
		.amdhsa_float_denorm_mode_16_64 3
		.amdhsa_fp16_overflow 0
		.amdhsa_memory_ordered 1
		.amdhsa_forward_progress 1
		.amdhsa_inst_pref_size 6
		.amdhsa_round_robin_scheduling 0
		.amdhsa_exception_fp_ieee_invalid_op 0
		.amdhsa_exception_fp_denorm_src 0
		.amdhsa_exception_fp_ieee_div_zero 0
		.amdhsa_exception_fp_ieee_overflow 0
		.amdhsa_exception_fp_ieee_underflow 0
		.amdhsa_exception_fp_ieee_inexact 0
		.amdhsa_exception_int_div_zero 0
	.end_amdhsa_kernel
	.text
.Lfunc_end0:
	.size	_Z8findminsiPKiS0_PVh, .Lfunc_end0-_Z8findminsiPKiS0_PVh
                                        ; -- End function
	.set _Z8findminsiPKiS0_PVh.num_vgpr, 18
	.set _Z8findminsiPKiS0_PVh.num_agpr, 0
	.set _Z8findminsiPKiS0_PVh.numbered_sgpr, 18
	.set _Z8findminsiPKiS0_PVh.num_named_barrier, 0
	.set _Z8findminsiPKiS0_PVh.private_seg_size, 0
	.set _Z8findminsiPKiS0_PVh.uses_vcc, 1
	.set _Z8findminsiPKiS0_PVh.uses_flat_scratch, 0
	.set _Z8findminsiPKiS0_PVh.has_dyn_sized_stack, 0
	.set _Z8findminsiPKiS0_PVh.has_recursion, 0
	.set _Z8findminsiPKiS0_PVh.has_indirect_call, 0
	.section	.AMDGPU.csdata,"",@progbits
; Kernel info:
; codeLenInByte = 720
; TotalNumSgprs: 20
; NumVgprs: 18
; ScratchSize: 0
; MemoryBound: 0
; FloatMode: 240
; IeeeMode: 1
; LDSByteSize: 0 bytes/workgroup (compile time only)
; SGPRBlocks: 0
; VGPRBlocks: 1
; NumSGPRsForWavesPerEU: 20
; NumVGPRsForWavesPerEU: 18
; NamedBarCnt: 0
; Occupancy: 16
; WaveLimiterHint : 1
; COMPUTE_PGM_RSRC2:SCRATCH_EN: 0
; COMPUTE_PGM_RSRC2:USER_SGPR: 2
; COMPUTE_PGM_RSRC2:TRAP_HANDLER: 0
; COMPUTE_PGM_RSRC2:TGID_X_EN: 1
; COMPUTE_PGM_RSRC2:TGID_Y_EN: 0
; COMPUTE_PGM_RSRC2:TGID_Z_EN: 0
; COMPUTE_PGM_RSRC2:TIDIG_COMP_CNT: 0
	.text
	.protected	_Z4initiiPKiPh          ; -- Begin function _Z4initiiPKiPh
	.globl	_Z4initiiPKiPh
	.p2align	8
	.type	_Z4initiiPKiPh,@function
_Z4initiiPKiPh:                         ; @_Z4initiiPKiPh
; %bb.0:
	s_load_b64 s[2:3], s[0:1], 0x0
	s_bfe_u32 s4, ttmp6, 0x4000c
	s_and_b32 s5, ttmp6, 15
	s_add_co_i32 s4, s4, 1
	s_getreg_b32 s6, hwreg(HW_REG_IB_STS2, 6, 4)
	s_mul_i32 s4, ttmp9, s4
	s_delay_alu instid0(SALU_CYCLE_1) | instskip(SKIP_3) | instid1(SALU_CYCLE_1)
	s_add_co_i32 s5, s5, s4
	s_cmp_eq_u32 s6, 0
	s_mov_b32 s6, 0
	s_cselect_b32 s4, ttmp9, s5
	v_lshl_add_u32 v0, s4, 8, v0
	s_mov_b32 s4, exec_lo
	s_wait_kmcnt 0x0
	s_delay_alu instid0(VALU_DEP_1)
	v_cmpx_gt_i32_e64 s2, v0
	s_cbranch_execz .LBB1_5
; %bb.1:
	s_cvt_f32_i32 s3, s3
	s_cvt_f32_i32 s4, s2
	s_clause 0x1
	s_load_b32 s5, s[0:1], 0x18
	s_load_b128 s[8:11], s[0:1], 0x8
	v_div_scale_f32 v1, null, s4, s4, s3
	v_div_scale_f32 v4, vcc_lo, s3, s4, s3
	s_delay_alu instid0(VALU_DEP_2)
	v_rcp_f32_e32 v2, v1
	v_nop
	v_xor_b32_e32 v1, 0x80000000, v1
	s_delay_alu instid0(TRANS32_DEP_1) | instid1(VALU_DEP_1)
	v_fma_f32 v3, v1, v2, 1.0
	s_wait_kmcnt 0x0
	s_lshl_b32 s0, s5, 8
	s_delay_alu instid0(VALU_DEP_1) | instskip(SKIP_1) | instid1(VALU_DEP_1)
	v_fmac_f32_e32 v2, v3, v2
	s_ashr_i32 s1, s0, 31
	v_mul_f32_e32 v3, v4, v2
	s_delay_alu instid0(VALU_DEP_1) | instskip(NEXT) | instid1(VALU_DEP_1)
	v_fma_f32 v5, v1, v3, v4
	v_fmac_f32_e32 v3, v5, v2
	s_delay_alu instid0(VALU_DEP_1) | instskip(NEXT) | instid1(VALU_DEP_1)
	v_dual_fmac_f32 v4, v1, v3 :: v_dual_ashrrev_i32 v1, 31, v0
	v_div_fmas_f32 v2, v4, v2, v3
	s_delay_alu instid0(VALU_DEP_2) | instskip(NEXT) | instid1(VALU_DEP_2)
	v_lshl_add_u64 v[4:5], v[0:1], 2, s[8:9]
	v_div_fixup_f32 v6, v2, s4, s3
	v_add_nc_u64_e32 v[2:3], s[10:11], v[0:1]
	s_lshl_b64 s[4:5], s[0:1], 2
	s_delay_alu instid0(VALU_DEP_2)
	v_mul_f32_e32 v7, 0x42fc0000, v6
	s_branch .LBB1_3
.LBB1_2:                                ;   in Loop: Header=BB1_3 Depth=1
	s_or_b32 exec_lo, exec_lo, s3
	v_add_nc_u32_e32 v0, s0, v0
	global_store_b8 v[2:3], v8, off
	s_wait_xcnt 0x0
	v_add_nc_u64_e32 v[2:3], s[0:1], v[2:3]
	v_add_nc_u64_e32 v[4:5], s[4:5], v[4:5]
	v_cmp_le_i32_e32 vcc_lo, s2, v0
	s_or_b32 s6, vcc_lo, s6
	s_delay_alu instid0(SALU_CYCLE_1)
	s_and_not1_b32 exec_lo, exec_lo, s6
	s_cbranch_execz .LBB1_5
.LBB1_3:                                ; =>This Inner Loop Header: Depth=1
	global_load_b64 v[8:9], v[4:5], off
	s_mov_b32 s3, exec_lo
	s_wait_loadcnt 0x0
	v_dual_mov_b32 v8, 0xfe :: v_dual_sub_nc_u32 v1, v9, v8
	s_wait_xcnt 0x0
	s_delay_alu instid0(VALU_DEP_1)
	v_cmpx_lt_i32_e32 0, v1
	s_cbranch_execz .LBB1_2
; %bb.4:                                ;   in Loop: Header=BB1_3 Depth=1
	v_lshrrev_b32_e32 v8, 16, v0
	v_cvt_f32_u32_e32 v1, v1
	s_delay_alu instid0(VALU_DEP_2) | instskip(NEXT) | instid1(VALU_DEP_1)
	v_xor_b32_e32 v8, v8, v0
	v_mul_lo_u32 v8, 0x45d9f3b, v8
	s_delay_alu instid0(VALU_DEP_1) | instskip(NEXT) | instid1(VALU_DEP_1)
	v_lshrrev_b32_e32 v9, 16, v8
	v_xor_b32_e32 v8, v9, v8
	s_delay_alu instid0(VALU_DEP_1) | instskip(NEXT) | instid1(VALU_DEP_1)
	v_mul_lo_u32 v8, 0x45d9f3b, v8
	v_lshrrev_b32_e32 v9, 16, v8
	s_delay_alu instid0(VALU_DEP_1) | instskip(NEXT) | instid1(VALU_DEP_1)
	v_xor_b32_e32 v8, v9, v8
	v_cvt_f32_u32_e32 v8, v8
	s_delay_alu instid0(VALU_DEP_1) | instskip(NEXT) | instid1(VALU_DEP_1)
	v_fmac_f32_e32 v1, 0xaf800000, v8
	v_add_f32_e32 v1, v6, v1
	s_delay_alu instid0(VALU_DEP_1) | instskip(NEXT) | instid1(VALU_DEP_1)
	v_div_scale_f32 v8, null, v1, v1, v7
	v_rcp_f32_e32 v9, v8
	v_nop
	s_delay_alu instid0(TRANS32_DEP_1) | instskip(NEXT) | instid1(VALU_DEP_1)
	v_fma_f32 v10, -v8, v9, 1.0
	v_fmac_f32_e32 v9, v10, v9
	v_div_scale_f32 v10, vcc_lo, v7, v1, v7
	s_delay_alu instid0(VALU_DEP_1) | instskip(NEXT) | instid1(VALU_DEP_1)
	v_mul_f32_e32 v11, v10, v9
	v_fma_f32 v12, -v8, v11, v10
	s_delay_alu instid0(VALU_DEP_1) | instskip(NEXT) | instid1(VALU_DEP_1)
	v_fmac_f32_e32 v11, v12, v9
	v_fma_f32 v8, -v8, v11, v10
	s_delay_alu instid0(VALU_DEP_1) | instskip(NEXT) | instid1(VALU_DEP_1)
	v_div_fmas_f32 v8, v8, v9, v11
	v_div_fixup_f32 v1, v8, v1, v7
	s_delay_alu instid0(VALU_DEP_1) | instskip(NEXT) | instid1(VALU_DEP_1)
	v_cvt_i32_f32_e32 v1, v1
	v_lshlrev_b16 v1, 1, v1
	s_delay_alu instid0(VALU_DEP_1)
	v_or_b32_e32 v8, 1, v1
	s_branch .LBB1_2
.LBB1_5:
	s_endpgm
	.section	.rodata,"a",@progbits
	.p2align	6, 0x0
	.amdhsa_kernel _Z4initiiPKiPh
		.amdhsa_group_segment_fixed_size 0
		.amdhsa_private_segment_fixed_size 0
		.amdhsa_kernarg_size 280
		.amdhsa_user_sgpr_count 2
		.amdhsa_user_sgpr_dispatch_ptr 0
		.amdhsa_user_sgpr_queue_ptr 0
		.amdhsa_user_sgpr_kernarg_segment_ptr 1
		.amdhsa_user_sgpr_dispatch_id 0
		.amdhsa_user_sgpr_kernarg_preload_length 0
		.amdhsa_user_sgpr_kernarg_preload_offset 0
		.amdhsa_user_sgpr_private_segment_size 0
		.amdhsa_wavefront_size32 1
		.amdhsa_uses_dynamic_stack 0
		.amdhsa_enable_private_segment 0
		.amdhsa_system_sgpr_workgroup_id_x 1
		.amdhsa_system_sgpr_workgroup_id_y 0
		.amdhsa_system_sgpr_workgroup_id_z 0
		.amdhsa_system_sgpr_workgroup_info 0
		.amdhsa_system_vgpr_workitem_id 0
		.amdhsa_next_free_vgpr 13
		.amdhsa_next_free_sgpr 12
		.amdhsa_named_barrier_count 0
		.amdhsa_reserve_vcc 1
		.amdhsa_float_round_mode_32 0
		.amdhsa_float_round_mode_16_64 0
		.amdhsa_float_denorm_mode_32 3
		.amdhsa_float_denorm_mode_16_64 3
		.amdhsa_fp16_overflow 0
		.amdhsa_memory_ordered 1
		.amdhsa_forward_progress 1
		.amdhsa_inst_pref_size 5
		.amdhsa_round_robin_scheduling 0
		.amdhsa_exception_fp_ieee_invalid_op 0
		.amdhsa_exception_fp_denorm_src 0
		.amdhsa_exception_fp_ieee_div_zero 0
		.amdhsa_exception_fp_ieee_overflow 0
		.amdhsa_exception_fp_ieee_underflow 0
		.amdhsa_exception_fp_ieee_inexact 0
		.amdhsa_exception_int_div_zero 0
	.end_amdhsa_kernel
	.text
.Lfunc_end1:
	.size	_Z4initiiPKiPh, .Lfunc_end1-_Z4initiiPKiPh
                                        ; -- End function
	.set _Z4initiiPKiPh.num_vgpr, 13
	.set _Z4initiiPKiPh.num_agpr, 0
	.set _Z4initiiPKiPh.numbered_sgpr, 12
	.set _Z4initiiPKiPh.num_named_barrier, 0
	.set _Z4initiiPKiPh.private_seg_size, 0
	.set _Z4initiiPKiPh.uses_vcc, 1
	.set _Z4initiiPKiPh.uses_flat_scratch, 0
	.set _Z4initiiPKiPh.has_dyn_sized_stack, 0
	.set _Z4initiiPKiPh.has_recursion, 0
	.set _Z4initiiPKiPh.has_indirect_call, 0
	.section	.AMDGPU.csdata,"",@progbits
; Kernel info:
; codeLenInByte = 580
; TotalNumSgprs: 14
; NumVgprs: 13
; ScratchSize: 0
; MemoryBound: 0
; FloatMode: 240
; IeeeMode: 1
; LDSByteSize: 0 bytes/workgroup (compile time only)
; SGPRBlocks: 0
; VGPRBlocks: 0
; NumSGPRsForWavesPerEU: 14
; NumVGPRsForWavesPerEU: 13
; NamedBarCnt: 0
; Occupancy: 16
; WaveLimiterHint : 0
; COMPUTE_PGM_RSRC2:SCRATCH_EN: 0
; COMPUTE_PGM_RSRC2:USER_SGPR: 2
; COMPUTE_PGM_RSRC2:TRAP_HANDLER: 0
; COMPUTE_PGM_RSRC2:TGID_X_EN: 1
; COMPUTE_PGM_RSRC2:TGID_Y_EN: 0
; COMPUTE_PGM_RSRC2:TGID_Z_EN: 0
; COMPUTE_PGM_RSRC2:TIDIG_COMP_CNT: 0
	.text
	.p2alignl 7, 3214868480
	.fill 96, 4, 3214868480
	.section	.AMDGPU.gpr_maximums,"",@progbits
	.set amdgpu.max_num_vgpr, 0
	.set amdgpu.max_num_agpr, 0
	.set amdgpu.max_num_sgpr, 0
	.text
	.type	__hip_cuid_ef229c41e86511bf,@object ; @__hip_cuid_ef229c41e86511bf
	.section	.bss,"aw",@nobits
	.globl	__hip_cuid_ef229c41e86511bf
__hip_cuid_ef229c41e86511bf:
	.byte	0                               ; 0x0
	.size	__hip_cuid_ef229c41e86511bf, 1

	.ident	"AMD clang version 22.0.0git (https://github.com/RadeonOpenCompute/llvm-project roc-7.2.4 26084 f58b06dce1f9c15707c5f808fd002e18c2accf7e)"
	.section	".note.GNU-stack","",@progbits
	.addrsig
	.addrsig_sym __hip_cuid_ef229c41e86511bf
	.amdgpu_metadata
---
amdhsa.kernels:
  - .args:
      - .offset:         0
        .size:           4
        .value_kind:     by_value
      - .actual_access:  read_only
        .address_space:  global
        .offset:         8
        .size:           8
        .value_kind:     global_buffer
      - .actual_access:  read_only
        .address_space:  global
        .offset:         16
        .size:           8
        .value_kind:     global_buffer
      - .address_space:  global
        .offset:         24
        .size:           8
        .value_kind:     global_buffer
      - .offset:         32
        .size:           4
        .value_kind:     hidden_block_count_x
      - .offset:         36
        .size:           4
        .value_kind:     hidden_block_count_y
      - .offset:         40
        .size:           4
        .value_kind:     hidden_block_count_z
      - .offset:         44
        .size:           2
        .value_kind:     hidden_group_size_x
      - .offset:         46
        .size:           2
        .value_kind:     hidden_group_size_y
      - .offset:         48
        .size:           2
        .value_kind:     hidden_group_size_z
      - .offset:         50
        .size:           2
        .value_kind:     hidden_remainder_x
      - .offset:         52
        .size:           2
        .value_kind:     hidden_remainder_y
      - .offset:         54
        .size:           2
        .value_kind:     hidden_remainder_z
      - .offset:         72
        .size:           8
        .value_kind:     hidden_global_offset_x
      - .offset:         80
        .size:           8
        .value_kind:     hidden_global_offset_y
      - .offset:         88
        .size:           8
        .value_kind:     hidden_global_offset_z
      - .offset:         96
        .size:           2
        .value_kind:     hidden_grid_dims
    .group_segment_fixed_size: 0
    .kernarg_segment_align: 8
    .kernarg_segment_size: 288
    .language:       OpenCL C
    .language_version:
      - 2
      - 0
    .max_flat_workgroup_size: 1024
    .name:           _Z8findminsiPKiS0_PVh
    .private_segment_fixed_size: 0
    .sgpr_count:     20
    .sgpr_spill_count: 0
    .symbol:         _Z8findminsiPKiS0_PVh.kd
    .uniform_work_group_size: 1
    .uses_dynamic_stack: false
    .vgpr_count:     18
    .vgpr_spill_count: 0
    .wavefront_size: 32
  - .args:
      - .offset:         0
        .size:           4
        .value_kind:     by_value
      - .offset:         4
        .size:           4
        .value_kind:     by_value
      - .actual_access:  read_only
        .address_space:  global
        .offset:         8
        .size:           8
        .value_kind:     global_buffer
      - .actual_access:  write_only
        .address_space:  global
        .offset:         16
        .size:           8
        .value_kind:     global_buffer
      - .offset:         24
        .size:           4
        .value_kind:     hidden_block_count_x
      - .offset:         28
        .size:           4
        .value_kind:     hidden_block_count_y
      - .offset:         32
        .size:           4
        .value_kind:     hidden_block_count_z
      - .offset:         36
        .size:           2
        .value_kind:     hidden_group_size_x
      - .offset:         38
        .size:           2
        .value_kind:     hidden_group_size_y
      - .offset:         40
        .size:           2
        .value_kind:     hidden_group_size_z
      - .offset:         42
        .size:           2
        .value_kind:     hidden_remainder_x
      - .offset:         44
        .size:           2
        .value_kind:     hidden_remainder_y
      - .offset:         46
        .size:           2
        .value_kind:     hidden_remainder_z
      - .offset:         64
        .size:           8
        .value_kind:     hidden_global_offset_x
      - .offset:         72
        .size:           8
        .value_kind:     hidden_global_offset_y
      - .offset:         80
        .size:           8
        .value_kind:     hidden_global_offset_z
      - .offset:         88
        .size:           2
        .value_kind:     hidden_grid_dims
    .group_segment_fixed_size: 0
    .kernarg_segment_align: 8
    .kernarg_segment_size: 280
    .language:       OpenCL C
    .language_version:
      - 2
      - 0
    .max_flat_workgroup_size: 1024
    .name:           _Z4initiiPKiPh
    .private_segment_fixed_size: 0
    .sgpr_count:     14
    .sgpr_spill_count: 0
    .symbol:         _Z4initiiPKiPh.kd
    .uniform_work_group_size: 1
    .uses_dynamic_stack: false
    .vgpr_count:     13
    .vgpr_spill_count: 0
    .wavefront_size: 32
amdhsa.target:   amdgcn-amd-amdhsa--gfx1250
amdhsa.version:
  - 1
  - 2
...

	.end_amdgpu_metadata
